;; amdgpu-corpus repo=ROCm/rocFFT kind=compiled arch=gfx1030 opt=O3
	.text
	.amdgcn_target "amdgcn-amd-amdhsa--gfx1030"
	.amdhsa_code_object_version 6
	.protected	bluestein_single_fwd_len960_dim1_dp_op_CI_CI ; -- Begin function bluestein_single_fwd_len960_dim1_dp_op_CI_CI
	.globl	bluestein_single_fwd_len960_dim1_dp_op_CI_CI
	.p2align	8
	.type	bluestein_single_fwd_len960_dim1_dp_op_CI_CI,@function
bluestein_single_fwd_len960_dim1_dp_op_CI_CI: ; @bluestein_single_fwd_len960_dim1_dp_op_CI_CI
; %bb.0:
	s_load_dwordx4 s[0:3], s[4:5], 0x28
	v_mul_u32_u24_e32 v1, 0x19a, v0
	v_mov_b32_e32 v121, 0
	v_lshrrev_b32_e32 v1, 16, v1
	v_add_nc_u32_e32 v120, s6, v1
	s_waitcnt lgkmcnt(0)
	v_cmp_gt_u64_e32 vcc_lo, s[0:1], v[120:121]
	s_and_saveexec_b32 s0, vcc_lo
	s_cbranch_execz .LBB0_23
; %bb.1:
	s_clause 0x1
	s_load_dwordx2 s[14:15], s[4:5], 0x0
	s_load_dwordx2 s[12:13], s[4:5], 0x38
	v_mul_lo_u16 v1, 0xa0, v1
	v_sub_nc_u16 v0, v0, v1
	v_and_b32_e32 v150, 0xffff, v0
	v_cmp_gt_u16_e32 vcc_lo, 60, v0
	v_lshlrev_b32_e32 v149, 4, v150
	s_and_saveexec_b32 s1, vcc_lo
	s_cbranch_execz .LBB0_3
; %bb.2:
	s_load_dwordx2 s[6:7], s[4:5], 0x18
	s_waitcnt lgkmcnt(0)
	v_add_co_u32 v18, s0, s14, v149
	v_add_co_ci_u32_e64 v19, null, s15, 0, s0
	global_load_dwordx4 v[0:3], v149, s[14:15]
	v_add_co_u32 v16, s0, 0x800, v18
	v_add_co_ci_u32_e64 v17, s0, 0, v19, s0
	v_add_co_u32 v24, s0, 0x1000, v18
	v_add_co_ci_u32_e64 v25, s0, 0, v19, s0
	;; [unrolled: 2-line block ×3, first 2 shown]
	v_add_co_u32 v32, s0, 0x1800, v18
	s_load_dwordx4 s[8:11], s[6:7], 0x0
	v_add_co_ci_u32_e64 v33, s0, 0, v19, s0
	v_add_co_u32 v40, s0, 0x2000, v18
	v_add_co_ci_u32_e64 v41, s0, 0, v19, s0
	v_add_co_u32 v48, s0, 0x2800, v18
	;; [unrolled: 2-line block ×3, first 2 shown]
	v_add_co_ci_u32_e64 v113, s0, 0, v19, s0
	s_clause 0x1
	global_load_dwordx4 v[4:7], v149, s[14:15] offset:960
	global_load_dwordx4 v[8:11], v149, s[14:15] offset:1920
	s_waitcnt lgkmcnt(0)
	v_mad_u64_u32 v[28:29], null, s10, v120, 0
	v_mad_u64_u32 v[36:37], null, s8, v150, 0
	s_mul_i32 s6, s9, 0x3c0
	s_mul_hi_u32 s7, s8, 0x3c0
	s_add_i32 s7, s7, s6
	v_mov_b32_e32 v12, v29
	v_mov_b32_e32 v13, v37
	v_mad_u64_u32 v[14:15], null, s11, v120, v[12:13]
	v_mad_u64_u32 v[30:31], null, s9, v150, v[13:14]
	v_mov_b32_e32 v29, v14
	s_clause 0x3
	global_load_dwordx4 v[12:15], v[16:17], off offset:832
	global_load_dwordx4 v[16:19], v[16:17], off offset:1792
	;; [unrolled: 1-line block ×4, first 2 shown]
	v_lshlrev_b64 v[38:39], 4, v[28:29]
	v_mov_b32_e32 v37, v30
	s_clause 0x1
	global_load_dwordx4 v[28:31], v[32:33], off offset:576
	global_load_dwordx4 v[32:35], v[32:33], off offset:1536
	v_add_co_u32 v38, s0, s2, v38
	v_lshlrev_b64 v[36:37], 4, v[36:37]
	v_add_co_ci_u32_e64 v39, s0, s3, v39, s0
	s_mul_i32 s2, s8, 0x3c0
	v_add_co_u32 v52, s0, v38, v36
	v_add_co_ci_u32_e64 v53, s0, v39, v37, s0
	s_clause 0x1
	global_load_dwordx4 v[36:39], v[40:41], off offset:448
	global_load_dwordx4 v[40:43], v[40:41], off offset:1408
	v_add_co_u32 v56, s0, v52, s2
	v_add_co_ci_u32_e64 v57, s0, s7, v53, s0
	s_clause 0x1
	global_load_dwordx4 v[44:47], v[48:49], off offset:320
	global_load_dwordx4 v[48:51], v[48:49], off offset:1280
	v_add_co_u32 v60, s0, v56, s2
	v_add_co_ci_u32_e64 v61, s0, s7, v57, s0
	s_clause 0x1
	global_load_dwordx4 v[52:55], v[52:53], off
	global_load_dwordx4 v[56:59], v[56:57], off
	v_add_co_u32 v64, s0, v60, s2
	v_add_co_ci_u32_e64 v65, s0, s7, v61, s0
	v_add_co_u32 v68, s0, v64, s2
	v_add_co_ci_u32_e64 v69, s0, s7, v65, s0
	s_clause 0x1
	global_load_dwordx4 v[60:63], v[60:61], off
	global_load_dwordx4 v[64:67], v[64:65], off
	v_add_co_u32 v72, s0, v68, s2
	v_add_co_ci_u32_e64 v73, s0, s7, v69, s0
	global_load_dwordx4 v[68:71], v[68:69], off
	v_add_co_u32 v76, s0, v72, s2
	v_add_co_ci_u32_e64 v77, s0, s7, v73, s0
	;; [unrolled: 3-line block ×11, first 2 shown]
	s_clause 0x1
	global_load_dwordx4 v[108:111], v[112:113], off offset:192
	global_load_dwordx4 v[112:115], v[112:113], off offset:1152
	global_load_dwordx4 v[116:119], v[116:117], off
	global_load_dwordx4 v[121:124], v[121:122], off offset:64
	global_load_dwordx4 v[125:128], v[125:126], off
	s_waitcnt vmcnt(18)
	v_mul_f64 v[129:130], v[54:55], v[2:3]
	v_mul_f64 v[2:3], v[52:53], v[2:3]
	s_waitcnt vmcnt(17)
	v_mul_f64 v[131:132], v[58:59], v[6:7]
	v_mul_f64 v[6:7], v[56:57], v[6:7]
	;; [unrolled: 3-line block ×5, first 2 shown]
	v_fma_f64 v[52:53], v[52:53], v[0:1], v[129:130]
	s_waitcnt vmcnt(13)
	v_mul_f64 v[129:130], v[74:75], v[22:23]
	v_mul_f64 v[22:23], v[72:73], v[22:23]
	v_fma_f64 v[54:55], v[54:55], v[0:1], -v[2:3]
	v_fma_f64 v[0:1], v[56:57], v[4:5], v[131:132]
	s_waitcnt vmcnt(12)
	v_mul_f64 v[56:57], v[78:79], v[26:27]
	v_mul_f64 v[26:27], v[76:77], v[26:27]
	v_fma_f64 v[2:3], v[58:59], v[4:5], -v[6:7]
	s_waitcnt vmcnt(11)
	v_mul_f64 v[58:59], v[82:83], v[30:31]
	v_mul_f64 v[30:31], v[80:81], v[30:31]
	v_fma_f64 v[4:5], v[60:61], v[8:9], v[133:134]
	v_fma_f64 v[6:7], v[62:63], v[8:9], -v[10:11]
	v_fma_f64 v[8:9], v[64:65], v[12:13], v[135:136]
	s_waitcnt vmcnt(10)
	v_mul_f64 v[60:61], v[86:87], v[34:35]
	v_mul_f64 v[34:35], v[84:85], v[34:35]
	v_fma_f64 v[10:11], v[66:67], v[12:13], -v[14:15]
	v_fma_f64 v[12:13], v[68:69], v[16:17], v[137:138]
	v_fma_f64 v[14:15], v[70:71], v[16:17], -v[18:19]
	s_waitcnt vmcnt(9)
	v_mul_f64 v[62:63], v[90:91], v[38:39]
	v_mul_f64 v[38:39], v[88:89], v[38:39]
	v_fma_f64 v[16:17], v[72:73], v[20:21], v[129:130]
	s_waitcnt vmcnt(8)
	v_mul_f64 v[64:65], v[94:95], v[42:43]
	v_mul_f64 v[42:43], v[92:93], v[42:43]
	v_fma_f64 v[18:19], v[74:75], v[20:21], -v[22:23]
	v_fma_f64 v[20:21], v[76:77], v[24:25], v[56:57]
	v_fma_f64 v[22:23], v[78:79], v[24:25], -v[26:27]
	s_waitcnt vmcnt(7)
	v_mul_f64 v[66:67], v[98:99], v[46:47]
	v_mul_f64 v[46:47], v[96:97], v[46:47]
	v_fma_f64 v[24:25], v[80:81], v[28:29], v[58:59]
	v_fma_f64 v[26:27], v[82:83], v[28:29], -v[30:31]
	s_waitcnt vmcnt(6)
	v_mul_f64 v[68:69], v[102:103], v[50:51]
	v_mul_f64 v[50:51], v[100:101], v[50:51]
	;; [unrolled: 5-line block ×3, first 2 shown]
	s_waitcnt vmcnt(2)
	v_mul_f64 v[131:132], v[118:119], v[114:115]
	v_mul_f64 v[114:115], v[116:117], v[114:115]
	s_waitcnt vmcnt(0)
	v_mul_f64 v[133:134], v[127:128], v[123:124]
	v_mul_f64 v[123:124], v[125:126], v[123:124]
	v_fma_f64 v[32:33], v[88:89], v[36:37], v[62:63]
	v_fma_f64 v[34:35], v[90:91], v[36:37], -v[38:39]
	v_fma_f64 v[36:37], v[92:93], v[40:41], v[64:65]
	v_fma_f64 v[38:39], v[94:95], v[40:41], -v[42:43]
	;; [unrolled: 2-line block ×7, first 2 shown]
	ds_write_b128 v149, v[52:55]
	ds_write_b128 v149, v[0:3] offset:960
	ds_write_b128 v149, v[4:7] offset:1920
	;; [unrolled: 1-line block ×15, first 2 shown]
.LBB0_3:
	s_or_b32 exec_lo, exec_lo, s1
	s_waitcnt lgkmcnt(0)
	s_barrier
	buffer_gl0_inv
                                        ; implicit-def: $vgpr0_vgpr1
                                        ; implicit-def: $vgpr12_vgpr13
                                        ; implicit-def: $vgpr32_vgpr33
                                        ; implicit-def: $vgpr56_vgpr57
                                        ; implicit-def: $vgpr60_vgpr61
                                        ; implicit-def: $vgpr48_vgpr49
                                        ; implicit-def: $vgpr52_vgpr53
                                        ; implicit-def: $vgpr40_vgpr41
                                        ; implicit-def: $vgpr44_vgpr45
                                        ; implicit-def: $vgpr36_vgpr37
                                        ; implicit-def: $vgpr24_vgpr25
                                        ; implicit-def: $vgpr16_vgpr17
                                        ; implicit-def: $vgpr28_vgpr29
                                        ; implicit-def: $vgpr8_vgpr9
                                        ; implicit-def: $vgpr20_vgpr21
                                        ; implicit-def: $vgpr4_vgpr5
	s_and_saveexec_b32 s0, vcc_lo
	s_cbranch_execz .LBB0_5
; %bb.4:
	ds_read_b128 v[0:3], v149
	ds_read_b128 v[4:7], v149 offset:960
	ds_read_b128 v[20:23], v149 offset:1920
	;; [unrolled: 1-line block ×15, first 2 shown]
.LBB0_5:
	s_or_b32 exec_lo, exec_lo, s0
	s_waitcnt lgkmcnt(7)
	v_add_f64 v[36:37], v[0:1], -v[36:37]
	v_add_f64 v[38:39], v[2:3], -v[38:39]
	s_waitcnt lgkmcnt(3)
	v_add_f64 v[52:53], v[28:29], -v[52:53]
	v_add_f64 v[54:55], v[30:31], -v[54:55]
	;; [unrolled: 1-line block ×4, first 2 shown]
	s_waitcnt lgkmcnt(1)
	v_add_f64 v[60:61], v[12:13], -v[60:61]
	v_add_f64 v[62:63], v[14:15], -v[62:63]
	v_add_f64 v[32:33], v[4:5], -v[32:33]
	v_add_f64 v[34:35], v[6:7], -v[34:35]
	v_add_f64 v[48:49], v[16:17], -v[48:49]
	v_add_f64 v[50:51], v[18:19], -v[50:51]
	v_add_f64 v[40:41], v[8:9], -v[40:41]
	v_add_f64 v[42:43], v[10:11], -v[42:43]
	s_waitcnt lgkmcnt(0)
	v_add_f64 v[58:59], v[26:27], -v[58:59]
	v_add_f64 v[56:57], v[24:25], -v[56:57]
	s_mov_b32 s0, 0x667f3bcd
	s_mov_b32 s1, 0xbfe6a09e
	;; [unrolled: 1-line block ×6, first 2 shown]
	v_fma_f64 v[0:1], v[0:1], 2.0, -v[36:37]
	v_fma_f64 v[2:3], v[2:3], 2.0, -v[38:39]
	;; [unrolled: 1-line block ×4, first 2 shown]
	v_add_f64 v[54:55], v[36:37], -v[54:55]
	v_add_f64 v[52:53], v[38:39], v[52:53]
	v_fma_f64 v[12:13], v[12:13], 2.0, -v[60:61]
	v_add_f64 v[64:65], v[44:45], -v[62:63]
	v_add_f64 v[60:61], v[60:61], v[46:47]
	v_fma_f64 v[20:21], v[20:21], 2.0, -v[44:45]
	v_add_f64 v[68:69], v[48:49], v[34:35]
	v_add_f64 v[66:67], v[32:33], -v[50:51]
	v_fma_f64 v[22:23], v[22:23], 2.0, -v[46:47]
	v_fma_f64 v[14:15], v[14:15], 2.0, -v[62:63]
	v_add_f64 v[70:71], v[40:41], -v[58:59]
	v_add_f64 v[72:73], v[56:57], v[42:43]
	v_fma_f64 v[4:5], v[4:5], 2.0, -v[32:33]
	v_fma_f64 v[6:7], v[6:7], 2.0, -v[34:35]
	;; [unrolled: 1-line block ×8, first 2 shown]
	v_add_f64 v[28:29], v[0:1], -v[28:29]
	v_add_f64 v[30:31], v[2:3], -v[30:31]
	v_fma_f64 v[36:37], v[36:37], 2.0, -v[54:55]
	v_fma_f64 v[38:39], v[38:39], 2.0, -v[52:53]
	s_mov_b32 s7, 0xbfed906b
	v_fma_f64 v[44:45], v[44:45], 2.0, -v[64:65]
	v_fma_f64 v[46:47], v[46:47], 2.0, -v[60:61]
	v_add_f64 v[12:13], v[20:21], -v[12:13]
	v_fma_f64 v[34:35], v[34:35], 2.0, -v[68:69]
	v_fma_f64 v[32:33], v[32:33], 2.0, -v[66:67]
	v_fma_f64 v[48:49], v[64:65], s[2:3], v[54:55]
	v_add_f64 v[14:15], v[22:23], -v[14:15]
	v_fma_f64 v[40:41], v[40:41], 2.0, -v[70:71]
	v_fma_f64 v[42:43], v[42:43], 2.0, -v[72:73]
	v_fma_f64 v[50:51], v[60:61], s[2:3], v[52:53]
	v_fma_f64 v[56:57], v[70:71], s[2:3], v[66:67]
	v_add_f64 v[16:17], v[4:5], -v[16:17]
	v_add_f64 v[18:19], v[6:7], -v[18:19]
	v_fma_f64 v[58:59], v[72:73], s[2:3], v[68:69]
	s_mov_b32 s9, 0xbfd87de2
	v_add_f64 v[24:25], v[8:9], -v[24:25]
	v_add_f64 v[26:27], v[10:11], -v[26:27]
	v_fma_f64 v[0:1], v[0:1], 2.0, -v[28:29]
	v_fma_f64 v[2:3], v[2:3], 2.0, -v[30:31]
	s_mov_b32 s11, 0x3fd87de2
	s_mov_b32 s17, 0x3fed906b
	;; [unrolled: 1-line block ×3, first 2 shown]
	v_fma_f64 v[62:63], v[44:45], s[0:1], v[36:37]
	v_fma_f64 v[74:75], v[46:47], s[0:1], v[38:39]
	v_fma_f64 v[20:21], v[20:21], 2.0, -v[12:13]
	v_add_f64 v[12:13], v[30:31], v[12:13]
	s_mov_b32 s16, s6
	v_fma_f64 v[48:49], v[60:61], s[0:1], v[48:49]
	v_fma_f64 v[22:23], v[22:23], 2.0, -v[14:15]
	v_fma_f64 v[76:77], v[40:41], s[0:1], v[32:33]
	v_fma_f64 v[78:79], v[42:43], s[0:1], v[34:35]
	v_add_f64 v[14:15], v[28:29], -v[14:15]
	v_fma_f64 v[94:95], v[64:65], s[2:3], v[50:51]
	v_fma_f64 v[4:5], v[4:5], 2.0, -v[16:17]
	v_fma_f64 v[6:7], v[6:7], 2.0, -v[18:19]
	v_fma_f64 v[50:51], v[72:73], s[0:1], v[56:57]
	v_fma_f64 v[56:57], v[70:71], s[2:3], v[58:59]
	v_fma_f64 v[8:9], v[8:9], 2.0, -v[24:25]
	v_fma_f64 v[10:11], v[10:11], 2.0, -v[26:27]
	v_add_f64 v[26:27], v[16:17], -v[26:27]
	v_add_f64 v[24:25], v[24:25], v[18:19]
	v_lshlrev_b16 v152, 4, v150
	s_barrier
	v_fma_f64 v[88:89], v[46:47], s[0:1], v[62:63]
	v_fma_f64 v[90:91], v[44:45], s[2:3], v[74:75]
	v_add_f64 v[20:21], v[0:1], -v[20:21]
	v_fma_f64 v[30:31], v[30:31], 2.0, -v[12:13]
	buffer_gl0_inv
	v_fma_f64 v[84:85], v[54:55], 2.0, -v[48:49]
	v_add_f64 v[22:23], v[2:3], -v[22:23]
	v_fma_f64 v[42:43], v[42:43], s[0:1], v[76:77]
	v_fma_f64 v[40:41], v[40:41], s[2:3], v[78:79]
	v_fma_f64 v[28:29], v[28:29], 2.0, -v[14:15]
	v_fma_f64 v[86:87], v[52:53], 2.0, -v[94:95]
	;; [unrolled: 1-line block ×4, first 2 shown]
	v_add_f64 v[8:9], v[4:5], -v[8:9]
	v_add_f64 v[10:11], v[6:7], -v[10:11]
	v_fma_f64 v[16:17], v[16:17], 2.0, -v[26:27]
	v_fma_f64 v[18:19], v[18:19], 2.0, -v[24:25]
	v_fma_f64 v[52:53], v[50:51], s[16:17], v[48:49]
	v_fma_f64 v[104:105], v[56:57], s[16:17], v[94:95]
	v_fma_f64 v[100:101], v[36:37], 2.0, -v[88:89]
	v_fma_f64 v[102:103], v[38:39], 2.0, -v[90:91]
	v_fma_f64 v[36:37], v[26:27], s[2:3], v[14:15]
	v_fma_f64 v[38:39], v[24:25], s[2:3], v[12:13]
	v_fma_f64 v[0:1], v[0:1], 2.0, -v[20:21]
	v_fma_f64 v[2:3], v[2:3], 2.0, -v[22:23]
	v_fma_f64 v[32:33], v[32:33], 2.0, -v[42:43]
	v_fma_f64 v[34:35], v[34:35], 2.0, -v[40:41]
	v_fma_f64 v[74:75], v[42:43], s[10:11], v[88:89]
	v_fma_f64 v[92:93], v[40:41], s[10:11], v[90:91]
	;; [unrolled: 1-line block ×4, first 2 shown]
	v_fma_f64 v[4:5], v[4:5], 2.0, -v[8:9]
	v_fma_f64 v[6:7], v[6:7], 2.0, -v[10:11]
	v_fma_f64 v[54:55], v[16:17], s[0:1], v[28:29]
	v_fma_f64 v[58:59], v[18:19], s[0:1], v[30:31]
	v_add_f64 v[64:65], v[20:21], -v[10:11]
	v_add_f64 v[66:67], v[22:23], v[8:9]
	v_fma_f64 v[72:73], v[56:57], s[8:9], v[52:53]
	v_fma_f64 v[76:77], v[24:25], s[0:1], v[36:37]
	;; [unrolled: 1-line block ×7, first 2 shown]
	v_add_f64 v[80:81], v[0:1], -v[4:5]
	v_add_f64 v[82:83], v[2:3], -v[6:7]
	v_fma_f64 v[60:61], v[18:19], s[0:1], v[54:55]
	v_fma_f64 v[62:63], v[16:17], s[2:3], v[58:59]
	;; [unrolled: 1-line block ×5, first 2 shown]
	v_fma_f64 v[44:45], v[20:21], 2.0, -v[64:65]
	v_fma_f64 v[46:47], v[22:23], 2.0, -v[66:67]
	;; [unrolled: 1-line block ×5, first 2 shown]
	v_fma_f64 v[96:97], v[34:35], s[8:9], v[96:97]
	v_fma_f64 v[98:99], v[32:33], s[10:11], v[98:99]
	v_fma_f64 v[84:85], v[84:85], 2.0, -v[56:57]
	v_fma_f64 v[88:89], v[88:89], 2.0, -v[68:69]
	;; [unrolled: 1-line block ×11, first 2 shown]
	s_and_saveexec_b32 s0, vcc_lo
	s_cbranch_execz .LBB0_7
; %bb.6:
	v_mov_b32_e32 v0, 4
	v_lshlrev_b32_sdwa v0, v0, v152 dst_sel:DWORD dst_unused:UNUSED_PAD src0_sel:DWORD src1_sel:WORD_0
	ds_write_b128 v0, v[36:39]
	ds_write_b128 v0, v[48:51] offset:16
	ds_write_b128 v0, v[40:43] offset:32
	;; [unrolled: 1-line block ×15, first 2 shown]
.LBB0_7:
	s_or_b32 exec_lo, exec_lo, s0
	s_clause 0x1
	s_load_dwordx2 s[2:3], s[4:5], 0x20
	s_load_dwordx2 s[4:5], s[4:5], 0x8
	v_cmp_gt_u16_e64 s0, 0x60, v150
	s_waitcnt lgkmcnt(0)
	s_barrier
	buffer_gl0_inv
	s_and_saveexec_b32 s1, s0
	s_cbranch_execz .LBB0_9
; %bb.8:
	ds_read_b128 v[36:39], v149
	ds_read_b128 v[48:51], v149 offset:1536
	ds_read_b128 v[40:43], v149 offset:3072
	;; [unrolled: 1-line block ×9, first 2 shown]
.LBB0_9:
	s_or_b32 exec_lo, exec_lo, s1
	v_and_b32_e32 v151, 15, v150
	s_mov_b32 s6, 0x134454ff
	s_mov_b32 s7, 0x3fee6f0e
	;; [unrolled: 1-line block ×4, first 2 shown]
	v_mad_u64_u32 v[24:25], null, 0x90, v151, s[4:5]
	s_mov_b32 s10, 0x4755a5e
	s_mov_b32 s11, 0x3fe2cf23
	;; [unrolled: 1-line block ×6, first 2 shown]
	s_clause 0x8
	global_load_dwordx4 v[16:19], v[24:25], off offset:64
	global_load_dwordx4 v[8:11], v[24:25], off offset:96
	;; [unrolled: 1-line block ×4, first 2 shown]
	global_load_dwordx4 v[0:3], v[24:25], off
	global_load_dwordx4 v[4:7], v[24:25], off offset:48
	global_load_dwordx4 v[12:15], v[24:25], off offset:80
	;; [unrolled: 1-line block ×4, first 2 shown]
	s_mov_b32 s20, 0x9b97f4a8
	s_mov_b32 s21, 0x3fe9e377
	s_waitcnt vmcnt(0) lgkmcnt(0)
	s_barrier
	buffer_gl0_inv
	v_mul_f64 v[100:101], v[90:91], v[18:19]
	v_mul_f64 v[104:105], v[94:95], v[10:11]
	;; [unrolled: 1-line block ×11, first 2 shown]
	v_fma_f64 v[102:103], v[88:89], v[16:17], -v[100:101]
	v_fma_f64 v[100:101], v[92:93], v[8:9], -v[104:105]
	;; [unrolled: 1-line block ×4, first 2 shown]
	v_fma_f64 v[108:109], v[90:91], v[16:17], v[110:111]
	v_fma_f64 v[106:107], v[94:95], v[8:9], v[112:113]
	;; [unrolled: 1-line block ×4, first 2 shown]
	v_mul_f64 v[84:85], v[46:47], v[6:7]
	v_mul_f64 v[86:87], v[54:55], v[14:15]
	;; [unrolled: 1-line block ×7, first 2 shown]
	v_fma_f64 v[48:49], v[48:49], v[0:1], -v[118:119]
	v_fma_f64 v[50:51], v[50:51], v[0:1], v[121:122]
	v_add_f64 v[118:119], v[102:103], v[100:101]
	v_add_f64 v[125:126], v[104:105], v[96:97]
	v_add_f64 v[121:122], v[108:109], v[106:107]
	v_add_f64 v[129:130], v[108:109], -v[110:111]
	v_add_f64 v[127:128], v[110:111], v[98:99]
	v_fma_f64 v[112:113], v[44:45], v[4:5], -v[84:85]
	v_fma_f64 v[44:45], v[52:53], v[12:13], -v[86:87]
	;; [unrolled: 1-line block ×3, first 2 shown]
	v_fma_f64 v[116:117], v[42:43], v[32:33], v[90:91]
	v_fma_f64 v[40:41], v[80:81], v[24:25], -v[92:93]
	v_fma_f64 v[42:43], v[82:83], v[24:25], v[94:95]
	v_fma_f64 v[114:115], v[46:47], v[4:5], v[114:115]
	;; [unrolled: 1-line block ×3, first 2 shown]
	v_add_f64 v[54:55], v[110:111], -v[98:99]
	v_add_f64 v[80:81], v[108:109], -v[106:107]
	v_add_f64 v[82:83], v[102:103], -v[100:101]
	v_add_f64 v[84:85], v[104:105], -v[96:97]
	v_add_f64 v[123:124], v[102:103], -v[104:105]
	v_add_f64 v[131:132], v[106:107], -v[98:99]
	v_add_f64 v[137:138], v[110:111], -v[108:109]
	v_fma_f64 v[86:87], v[118:119], -0.5, v[48:49]
	v_add_f64 v[118:119], v[104:105], -v[102:103]
	v_fma_f64 v[90:91], v[125:126], -0.5, v[48:49]
	v_add_f64 v[125:126], v[100:101], -v[96:97]
	;; [unrolled: 2-line block ×4, first 2 shown]
	v_add_f64 v[94:95], v[112:113], v[44:45]
	v_add_f64 v[163:164], v[112:113], -v[44:45]
	v_add_f64 v[155:156], v[52:53], -v[112:113]
	v_add_f64 v[127:128], v[52:53], v[40:41]
	v_add_f64 v[135:136], v[116:117], v[42:43]
	v_add_f64 v[153:154], v[116:117], -v[42:43]
	v_add_f64 v[133:134], v[114:115], v[46:47]
	v_add_f64 v[159:160], v[114:115], -v[46:47]
	v_add_f64 v[161:162], v[52:53], -v[40:41]
	;; [unrolled: 1-line block ×3, first 2 shown]
	v_fma_f64 v[143:144], v[54:55], s[6:7], v[86:87]
	v_fma_f64 v[86:87], v[54:55], s[8:9], v[86:87]
	;; [unrolled: 1-line block ×8, first 2 shown]
	v_fma_f64 v[94:95], v[94:95], -0.5, v[36:37]
	v_add_f64 v[118:119], v[118:119], v[121:122]
	v_add_f64 v[123:124], v[123:124], v[125:126]
	v_fma_f64 v[121:122], v[127:128], -0.5, v[36:37]
	v_add_f64 v[127:128], v[129:130], v[131:132]
	v_fma_f64 v[129:130], v[135:136], -0.5, v[38:39]
	v_fma_f64 v[125:126], v[133:134], -0.5, v[38:39]
	v_add_f64 v[131:132], v[137:138], v[139:140]
	v_fma_f64 v[135:136], v[80:81], s[10:11], v[143:144]
	v_fma_f64 v[80:81], v[80:81], s[16:17], v[86:87]
	;; [unrolled: 1-line block ×8, first 2 shown]
	v_add_f64 v[86:87], v[112:113], -v[52:53]
	v_add_f64 v[88:89], v[44:45], -v[40:41]
	;; [unrolled: 1-line block ×6, first 2 shown]
	v_fma_f64 v[145:146], v[153:154], s[6:7], v[94:95]
	v_fma_f64 v[94:95], v[153:154], s[8:9], v[94:95]
	;; [unrolled: 1-line block ×16, first 2 shown]
	v_add_f64 v[118:119], v[155:156], v[157:158]
	v_add_f64 v[86:87], v[86:87], v[88:89]
	;; [unrolled: 1-line block ×4, first 2 shown]
	v_fma_f64 v[54:55], v[159:160], s[10:11], v[145:146]
	v_fma_f64 v[92:93], v[159:160], s[16:17], v[94:95]
	;; [unrolled: 1-line block ×8, first 2 shown]
	v_mul_f64 v[145:146], v[169:170], s[16:17]
	v_mul_f64 v[159:160], v[80:81], s[20:21]
	;; [unrolled: 1-line block ×8, first 2 shown]
	v_fma_f64 v[54:55], v[118:119], s[18:19], v[54:55]
	v_fma_f64 v[125:126], v[118:119], s[18:19], v[92:93]
	;; [unrolled: 1-line block ×9, first 2 shown]
	v_fma_f64 v[133:134], v[82:83], s[10:11], -v[159:160]
	v_fma_f64 v[129:130], v[84:85], s[6:7], -v[155:156]
	v_fma_f64 v[121:122], v[169:170], s[20:21], v[143:144]
	v_fma_f64 v[143:144], v[171:172], s[18:19], v[153:154]
	;; [unrolled: 1-line block ×3, first 2 shown]
	v_fma_f64 v[145:146], v[175:176], s[8:9], -v[157:158]
	v_fma_f64 v[147:148], v[80:81], s[16:17], -v[161:162]
	v_lshrrev_b32_e32 v153, 4, v150
	v_add_f64 v[82:83], v[131:132], -v[137:138]
	v_add_f64 v[88:89], v[125:126], -v[133:134]
	;; [unrolled: 1-line block ×8, first 2 shown]
	s_and_saveexec_b32 s1, s0
	s_cbranch_execz .LBB0_11
; %bb.10:
	v_add_f64 v[38:39], v[38:39], v[116:117]
	v_add_f64 v[50:51], v[50:51], v[110:111]
	;; [unrolled: 1-line block ×4, first 2 shown]
	v_mul_u32_u24_e32 v104, 0xa0, v153
	v_add_f64 v[38:39], v[38:39], v[114:115]
	v_add_f64 v[50:51], v[50:51], v[108:109]
	;; [unrolled: 1-line block ×20, first 2 shown]
	v_add_f64 v[54:55], v[52:53], -v[98:99]
	v_add_f64 v[98:99], v[52:53], v[98:99]
	v_add_f64 v[96:97], v[100:101], v[102:103]
	v_add_f64 v[52:53], v[100:101], -v[102:103]
	v_or_b32_e32 v100, v104, v151
	v_lshlrev_b32_e32 v100, 4, v100
	ds_write_b128 v100, v[80:83] offset:1536
	ds_write_b128 v100, v[84:87] offset:1792
	;; [unrolled: 1-line block ×7, first 2 shown]
	ds_write_b128 v100, v[96:99]
	ds_write_b128 v100, v[52:55] offset:1280
	ds_write_b128 v100, v[88:91] offset:2304
.LBB0_11:
	s_or_b32 exec_lo, exec_lo, s1
	v_mad_u64_u32 v[36:37], null, 0x50, v150, s[4:5]
	s_load_dwordx4 s[4:7], s[2:3], 0x0
	s_waitcnt lgkmcnt(0)
	s_barrier
	buffer_gl0_inv
	s_mov_b32 s2, 0xe8584caa
	s_mov_b32 s3, 0x3febb67a
	v_add_co_u32 v44, s1, 0x900, v36
	v_add_co_ci_u32_e64 v45, s1, 0, v37, s1
	v_add_co_u32 v40, s1, 0x800, v36
	v_add_co_ci_u32_e64 v41, s1, 0, v37, s1
	s_mov_b32 s9, 0xbfebb67a
	s_clause 0x4
	global_load_dwordx4 v[36:39], v[44:45], off offset:32
	global_load_dwordx4 v[52:55], v[40:41], off offset:320
	;; [unrolled: 1-line block ×5, first 2 shown]
	ds_read_b128 v[96:99], v149 offset:7680
	ds_read_b128 v[100:103], v149 offset:12800
	;; [unrolled: 1-line block ×5, first 2 shown]
	s_mov_b32 s8, s2
	s_waitcnt vmcnt(4) lgkmcnt(4)
	v_mul_f64 v[116:117], v[98:99], v[38:39]
	v_mul_f64 v[118:119], v[96:97], v[38:39]
	s_waitcnt vmcnt(3) lgkmcnt(3)
	v_mul_f64 v[121:122], v[100:101], v[54:55]
	v_mul_f64 v[123:124], v[102:103], v[54:55]
	;; [unrolled: 3-line block ×3, first 2 shown]
	v_fma_f64 v[116:117], v[96:97], v[36:37], -v[116:117]
	v_fma_f64 v[118:119], v[98:99], v[36:37], v[118:119]
	v_fma_f64 v[102:103], v[102:103], v[52:53], v[121:122]
	v_fma_f64 v[100:101], v[100:101], v[52:53], -v[123:124]
	s_waitcnt vmcnt(1) lgkmcnt(1)
	v_mul_f64 v[96:97], v[110:111], v[50:51]
	v_mul_f64 v[98:99], v[108:109], v[50:51]
	s_waitcnt vmcnt(0) lgkmcnt(0)
	v_mul_f64 v[121:122], v[114:115], v[46:47]
	v_mul_f64 v[123:124], v[112:113], v[46:47]
	v_fma_f64 v[104:105], v[104:105], v[40:41], -v[125:126]
	v_fma_f64 v[106:107], v[106:107], v[40:41], v[127:128]
	v_add_f64 v[125:126], v[118:119], v[102:103]
	v_add_f64 v[127:128], v[116:117], v[100:101]
	v_fma_f64 v[108:109], v[108:109], v[48:49], -v[96:97]
	v_fma_f64 v[110:111], v[110:111], v[48:49], v[98:99]
	v_fma_f64 v[112:113], v[112:113], v[44:45], -v[121:122]
	v_fma_f64 v[114:115], v[114:115], v[44:45], v[123:124]
	v_add_f64 v[121:122], v[118:119], -v[102:103]
	v_add_f64 v[123:124], v[116:117], -v[100:101]
	ds_read_b128 v[96:99], v149
	v_fma_f64 v[125:126], v[125:126], -0.5, v[106:107]
	v_fma_f64 v[127:128], v[127:128], -0.5, v[104:105]
	v_add_f64 v[104:105], v[104:105], v[116:117]
	v_add_f64 v[106:107], v[106:107], v[118:119]
	;; [unrolled: 1-line block ×4, first 2 shown]
	v_fma_f64 v[133:134], v[123:124], s[8:9], v[125:126]
	v_fma_f64 v[135:136], v[121:122], s[8:9], v[127:128]
	;; [unrolled: 1-line block ×4, first 2 shown]
	s_waitcnt lgkmcnt(0)
	v_add_f64 v[125:126], v[96:97], v[108:109]
	v_add_f64 v[127:128], v[110:111], -v[114:115]
	v_add_f64 v[110:111], v[98:99], v[110:111]
	v_fma_f64 v[96:97], v[129:130], -0.5, v[96:97]
	v_add_f64 v[108:109], v[108:109], -v[112:113]
	v_fma_f64 v[98:99], v[131:132], -0.5, v[98:99]
	v_add_f64 v[100:101], v[104:105], v[100:101]
	v_add_f64 v[102:103], v[106:107], v[102:103]
	v_mul_f64 v[116:117], v[133:134], s[2:3]
	v_mul_f64 v[118:119], v[135:136], -0.5
	v_mul_f64 v[129:130], v[121:122], s[8:9]
	v_mul_f64 v[131:132], v[123:124], -0.5
	v_add_f64 v[112:113], v[125:126], v[112:113]
	v_add_f64 v[110:111], v[110:111], v[114:115]
	v_fma_f64 v[125:126], v[127:128], s[2:3], v[96:97]
	v_fma_f64 v[127:128], v[127:128], s[8:9], v[96:97]
	;; [unrolled: 1-line block ×4, first 2 shown]
	v_fma_f64 v[108:109], v[121:122], 0.5, v[116:117]
	v_fma_f64 v[118:119], v[123:124], s[2:3], v[118:119]
	v_fma_f64 v[121:122], v[133:134], 0.5, v[129:130]
	v_fma_f64 v[123:124], v[135:136], s[8:9], v[131:132]
	v_add_f64 v[104:105], v[112:113], v[100:101]
	v_add_f64 v[100:101], v[112:113], -v[100:101]
	v_add_f64 v[106:107], v[110:111], v[102:103]
	v_add_f64 v[102:103], v[110:111], -v[102:103]
	v_add_f64 v[96:97], v[125:126], v[108:109]
	v_add_f64 v[112:113], v[127:128], v[118:119]
	;; [unrolled: 1-line block ×4, first 2 shown]
	v_add_f64 v[116:117], v[125:126], -v[108:109]
	v_add_f64 v[108:109], v[127:128], -v[118:119]
	;; [unrolled: 1-line block ×4, first 2 shown]
	ds_write_b128 v149, v[104:107]
	ds_write_b128 v149, v[100:103] offset:7680
	ds_write_b128 v149, v[96:99] offset:2560
	;; [unrolled: 1-line block ×5, first 2 shown]
	s_waitcnt lgkmcnt(0)
	s_barrier
	buffer_gl0_inv
	s_and_saveexec_b32 s2, vcc_lo
	s_cbranch_execz .LBB0_13
; %bb.12:
	v_add_co_u32 v121, s1, s14, v149
	v_add_co_ci_u32_e64 v122, null, s15, 0, s1
	v_add_co_u32 v123, s1, 0x3800, v121
	v_add_co_ci_u32_e64 v124, s1, 0, v122, s1
	v_add_co_u32 v131, s1, 0x3c00, v121
	v_add_co_ci_u32_e64 v132, s1, 0, v122, s1
	global_load_dwordx4 v[123:126], v[123:124], off offset:1024
	v_add_co_u32 v135, s1, 0x4000, v121
	s_clause 0x1
	global_load_dwordx4 v[127:130], v[131:132], off offset:960
	global_load_dwordx4 v[131:134], v[131:132], off offset:1920
	v_add_co_ci_u32_e64 v136, s1, 0, v122, s1
	v_add_co_u32 v143, s1, 0x4800, v121
	v_add_co_ci_u32_e64 v144, s1, 0, v122, s1
	s_clause 0x2
	global_load_dwordx4 v[135:138], v[135:136], off offset:1856
	global_load_dwordx4 v[139:142], v[143:144], off offset:768
	;; [unrolled: 1-line block ×3, first 2 shown]
	v_add_co_u32 v147, s1, 0x5000, v121
	v_add_co_ci_u32_e64 v148, s1, 0, v122, s1
	s_clause 0x1
	global_load_dwordx4 v[154:157], v[147:148], off offset:640
	global_load_dwordx4 v[158:161], v[147:148], off offset:1600
	v_add_co_u32 v147, s1, 0x5800, v121
	v_add_co_ci_u32_e64 v148, s1, 0, v122, s1
	s_clause 0x1
	global_load_dwordx4 v[162:165], v[147:148], off offset:512
	global_load_dwordx4 v[166:169], v[147:148], off offset:1472
	ds_read_b128 v[170:173], v149
	ds_read_b128 v[174:177], v149 offset:960
	s_waitcnt vmcnt(9) lgkmcnt(1)
	v_mul_f64 v[147:148], v[172:173], v[125:126]
	v_mul_f64 v[125:126], v[170:171], v[125:126]
	s_waitcnt vmcnt(8) lgkmcnt(0)
	v_mul_f64 v[178:179], v[176:177], v[129:130]
	v_mul_f64 v[129:130], v[174:175], v[129:130]
	v_fma_f64 v[170:171], v[170:171], v[123:124], -v[147:148]
	v_fma_f64 v[172:173], v[172:173], v[123:124], v[125:126]
	ds_read_b128 v[123:126], v149 offset:1920
	v_fma_f64 v[174:175], v[174:175], v[127:128], -v[178:179]
	v_fma_f64 v[176:177], v[176:177], v[127:128], v[129:130]
	ds_read_b128 v[127:130], v149 offset:2880
	s_waitcnt vmcnt(7) lgkmcnt(1)
	v_mul_f64 v[147:148], v[125:126], v[133:134]
	v_mul_f64 v[133:134], v[123:124], v[133:134]
	s_waitcnt vmcnt(6) lgkmcnt(0)
	v_mul_f64 v[178:179], v[129:130], v[137:138]
	v_mul_f64 v[137:138], v[127:128], v[137:138]
	v_fma_f64 v[123:124], v[123:124], v[131:132], -v[147:148]
	v_fma_f64 v[125:126], v[125:126], v[131:132], v[133:134]
	ds_read_b128 v[131:134], v149 offset:3840
	v_fma_f64 v[127:128], v[127:128], v[135:136], -v[178:179]
	v_fma_f64 v[129:130], v[129:130], v[135:136], v[137:138]
	;; [unrolled: 12-line block ×3, first 2 shown]
	ds_read_b128 v[143:146], v149 offset:6720
	s_waitcnt vmcnt(3) lgkmcnt(1)
	v_mul_f64 v[147:148], v[141:142], v[156:157]
	v_mul_f64 v[156:157], v[139:140], v[156:157]
	s_waitcnt vmcnt(2) lgkmcnt(0)
	v_mul_f64 v[178:179], v[145:146], v[160:161]
	v_fma_f64 v[139:140], v[139:140], v[154:155], -v[147:148]
	v_mul_f64 v[147:148], v[143:144], v[160:161]
	v_fma_f64 v[141:142], v[141:142], v[154:155], v[156:157]
	ds_read_b128 v[154:157], v149 offset:7680
	v_fma_f64 v[143:144], v[143:144], v[158:159], -v[178:179]
	v_add_co_u32 v178, s1, 0x6000, v121
	v_add_co_ci_u32_e64 v179, s1, 0, v122, s1
	v_fma_f64 v[145:146], v[145:146], v[158:159], v[147:148]
	ds_read_b128 v[158:161], v149 offset:8640
	s_waitcnt vmcnt(1) lgkmcnt(1)
	v_mul_f64 v[147:148], v[156:157], v[164:165]
	v_mul_f64 v[164:165], v[154:155], v[164:165]
	v_fma_f64 v[154:155], v[154:155], v[162:163], -v[147:148]
	v_fma_f64 v[156:157], v[156:157], v[162:163], v[164:165]
	s_waitcnt vmcnt(0) lgkmcnt(0)
	v_mul_f64 v[147:148], v[160:161], v[168:169]
	global_load_dwordx4 v[162:165], v[178:179], off offset:384
	v_mul_f64 v[168:169], v[158:159], v[168:169]
	v_fma_f64 v[158:159], v[158:159], v[166:167], -v[147:148]
	v_fma_f64 v[160:161], v[160:161], v[166:167], v[168:169]
	global_load_dwordx4 v[166:169], v[178:179], off offset:1344
	ds_read_b128 v[178:181], v149 offset:9600
	ds_read_b128 v[182:185], v149 offset:10560
	s_waitcnt vmcnt(1) lgkmcnt(1)
	v_mul_f64 v[147:148], v[180:181], v[164:165]
	v_mul_f64 v[164:165], v[178:179], v[164:165]
	v_fma_f64 v[178:179], v[178:179], v[162:163], -v[147:148]
	v_fma_f64 v[180:181], v[180:181], v[162:163], v[164:165]
	s_waitcnt vmcnt(0) lgkmcnt(0)
	v_mul_f64 v[147:148], v[184:185], v[168:169]
	v_mul_f64 v[164:165], v[182:183], v[168:169]
	v_fma_f64 v[162:163], v[182:183], v[166:167], -v[147:148]
	v_add_co_u32 v147, s1, 0x6800, v121
	v_add_co_ci_u32_e64 v148, s1, 0, v122, s1
	v_fma_f64 v[164:165], v[184:185], v[166:167], v[164:165]
	s_clause 0x1
	global_load_dwordx4 v[166:169], v[147:148], off offset:256
	global_load_dwordx4 v[182:185], v[147:148], off offset:1216
	ds_read_b128 v[186:189], v149 offset:11520
	ds_read_b128 v[190:193], v149 offset:12480
	v_add_co_u32 v121, s1, 0x7000, v121
	v_add_co_ci_u32_e64 v122, s1, 0, v122, s1
	s_waitcnt vmcnt(1) lgkmcnt(1)
	v_mul_f64 v[147:148], v[188:189], v[168:169]
	v_mul_f64 v[168:169], v[186:187], v[168:169]
	v_fma_f64 v[186:187], v[186:187], v[166:167], -v[147:148]
	v_fma_f64 v[188:189], v[188:189], v[166:167], v[168:169]
	s_waitcnt vmcnt(0) lgkmcnt(0)
	v_mul_f64 v[147:148], v[192:193], v[184:185]
	v_mul_f64 v[168:169], v[190:191], v[184:185]
	v_fma_f64 v[166:167], v[190:191], v[182:183], -v[147:148]
	v_fma_f64 v[168:169], v[192:193], v[182:183], v[168:169]
	s_clause 0x1
	global_load_dwordx4 v[182:185], v[121:122], off offset:128
	global_load_dwordx4 v[190:193], v[121:122], off offset:1088
	ds_read_b128 v[194:197], v149 offset:13440
	ds_read_b128 v[198:201], v149 offset:14400
	s_waitcnt vmcnt(1) lgkmcnt(1)
	v_mul_f64 v[121:122], v[196:197], v[184:185]
	v_mul_f64 v[147:148], v[194:195], v[184:185]
	v_fma_f64 v[194:195], v[194:195], v[182:183], -v[121:122]
	v_fma_f64 v[196:197], v[196:197], v[182:183], v[147:148]
	s_waitcnt vmcnt(0) lgkmcnt(0)
	v_mul_f64 v[121:122], v[200:201], v[192:193]
	v_mul_f64 v[147:148], v[198:199], v[192:193]
	v_fma_f64 v[182:183], v[198:199], v[190:191], -v[121:122]
	v_fma_f64 v[184:185], v[200:201], v[190:191], v[147:148]
	ds_write_b128 v149, v[170:173]
	ds_write_b128 v149, v[174:177] offset:960
	ds_write_b128 v149, v[123:126] offset:1920
	;; [unrolled: 1-line block ×15, first 2 shown]
.LBB0_13:
	s_or_b32 exec_lo, exec_lo, s2
	s_waitcnt lgkmcnt(0)
	s_barrier
	buffer_gl0_inv
	s_and_saveexec_b32 s1, vcc_lo
	s_cbranch_execz .LBB0_15
; %bb.14:
	ds_read_b128 v[104:107], v149
	ds_read_b128 v[96:99], v149 offset:960
	ds_read_b128 v[112:115], v149 offset:1920
	;; [unrolled: 1-line block ×15, first 2 shown]
.LBB0_15:
	s_or_b32 exec_lo, exec_lo, s1
	s_waitcnt lgkmcnt(7)
	v_add_f64 v[92:93], v[104:105], -v[92:93]
	v_add_f64 v[94:95], v[106:107], -v[94:95]
	s_waitcnt lgkmcnt(3)
	v_add_f64 v[64:65], v[116:117], -v[64:65]
	v_add_f64 v[66:67], v[118:119], -v[66:67]
	;; [unrolled: 1-line block ×4, first 2 shown]
	s_waitcnt lgkmcnt(1)
	v_add_f64 v[76:77], v[80:81], -v[76:77]
	v_add_f64 v[78:79], v[82:83], -v[78:79]
	;; [unrolled: 1-line block ×8, first 2 shown]
	s_waitcnt lgkmcnt(0)
	v_add_f64 v[74:75], v[86:87], -v[74:75]
	v_add_f64 v[72:73], v[84:85], -v[72:73]
	s_mov_b32 s2, 0x667f3bcd
	s_mov_b32 s3, 0xbfe6a09e
	;; [unrolled: 1-line block ×6, first 2 shown]
	v_fma_f64 v[104:105], v[104:105], 2.0, -v[92:93]
	v_fma_f64 v[106:107], v[106:107], 2.0, -v[94:95]
	;; [unrolled: 1-line block ×4, first 2 shown]
	v_add_f64 v[66:67], v[92:93], v[66:67]
	v_add_f64 v[64:65], v[94:95], -v[64:65]
	v_fma_f64 v[80:81], v[80:81], 2.0, -v[76:77]
	v_add_f64 v[121:122], v[78:79], v[60:61]
	v_add_f64 v[76:77], v[62:63], -v[76:77]
	v_fma_f64 v[112:113], v[112:113], 2.0, -v[60:61]
	v_add_f64 v[125:126], v[90:91], -v[68:69]
	v_add_f64 v[123:124], v[70:71], v[88:89]
	v_fma_f64 v[114:115], v[114:115], 2.0, -v[62:63]
	v_fma_f64 v[78:79], v[82:83], 2.0, -v[78:79]
	v_add_f64 v[127:128], v[74:75], v[56:57]
	v_add_f64 v[129:130], v[58:59], -v[72:73]
	v_fma_f64 v[82:83], v[96:97], 2.0, -v[88:89]
	v_fma_f64 v[96:97], v[98:99], 2.0, -v[90:91]
	v_fma_f64 v[68:69], v[108:109], 2.0, -v[68:69]
	v_fma_f64 v[70:71], v[110:111], 2.0, -v[70:71]
	v_fma_f64 v[98:99], v[100:101], 2.0, -v[56:57]
	v_fma_f64 v[100:101], v[102:103], 2.0, -v[58:59]
	v_fma_f64 v[72:73], v[84:85], 2.0, -v[72:73]
	v_fma_f64 v[74:75], v[86:87], 2.0, -v[74:75]
	v_add_f64 v[84:85], v[104:105], -v[116:117]
	s_mov_b32 s11, 0xbfed906b
	v_fma_f64 v[86:87], v[92:93], 2.0, -v[66:67]
	v_fma_f64 v[92:93], v[94:95], 2.0, -v[64:65]
	v_add_f64 v[94:95], v[106:107], -v[118:119]
	v_fma_f64 v[60:61], v[60:61], 2.0, -v[121:122]
	v_fma_f64 v[62:63], v[62:63], 2.0, -v[76:77]
	v_add_f64 v[80:81], v[112:113], -v[80:81]
	v_fma_f64 v[90:91], v[90:91], 2.0, -v[125:126]
	v_fma_f64 v[88:89], v[88:89], 2.0, -v[123:124]
	v_fma_f64 v[102:103], v[121:122], s[8:9], v[66:67]
	v_add_f64 v[78:79], v[114:115], -v[78:79]
	v_fma_f64 v[56:57], v[56:57], 2.0, -v[127:128]
	v_fma_f64 v[58:59], v[58:59], 2.0, -v[129:130]
	v_fma_f64 v[108:109], v[76:77], s[8:9], v[64:65]
	v_fma_f64 v[110:111], v[127:128], s[8:9], v[123:124]
	v_add_f64 v[68:69], v[82:83], -v[68:69]
	v_add_f64 v[70:71], v[96:97], -v[70:71]
	v_fma_f64 v[116:117], v[129:130], s[8:9], v[125:126]
	s_mov_b32 s17, 0x3fd87de2
	v_add_f64 v[72:73], v[98:99], -v[72:73]
	v_add_f64 v[74:75], v[100:101], -v[74:75]
	v_fma_f64 v[104:105], v[104:105], 2.0, -v[84:85]
	s_mov_b32 s19, 0xbfd87de2
	s_mov_b32 s21, 0x3fed906b
	;; [unrolled: 1-line block ×3, first 2 shown]
	v_fma_f64 v[106:107], v[106:107], 2.0, -v[94:95]
	v_fma_f64 v[118:119], v[60:61], s[2:3], v[86:87]
	v_fma_f64 v[131:132], v[62:63], s[2:3], v[92:93]
	v_fma_f64 v[112:113], v[112:113], 2.0, -v[80:81]
	v_add_f64 v[80:81], v[94:95], -v[80:81]
	s_mov_b32 s20, s10
	v_fma_f64 v[139:140], v[76:77], s[8:9], v[102:103]
	v_fma_f64 v[114:115], v[114:115], 2.0, -v[78:79]
	v_fma_f64 v[133:134], v[56:57], s[2:3], v[88:89]
	v_fma_f64 v[135:136], v[58:59], s[2:3], v[90:91]
	v_add_f64 v[137:138], v[84:85], v[78:79]
	v_fma_f64 v[121:122], v[121:122], s[2:3], v[108:109]
	v_fma_f64 v[82:83], v[82:83], 2.0, -v[68:69]
	v_fma_f64 v[96:97], v[96:97], 2.0, -v[70:71]
	v_fma_f64 v[108:109], v[127:128], s[2:3], v[116:117]
	v_fma_f64 v[76:77], v[98:99], 2.0, -v[72:73]
	v_fma_f64 v[78:79], v[100:101], 2.0, -v[74:75]
	v_add_f64 v[74:75], v[74:75], v[68:69]
	v_add_f64 v[72:73], v[70:71], -v[72:73]
	v_fma_f64 v[98:99], v[129:130], s[8:9], v[110:111]
	s_barrier
	buffer_gl0_inv
	v_fma_f64 v[62:63], v[62:63], s[8:9], v[118:119]
	v_fma_f64 v[60:61], v[60:61], s[2:3], v[131:132]
	v_add_f64 v[127:128], v[104:105], -v[112:113]
	v_fma_f64 v[131:132], v[94:95], 2.0, -v[80:81]
	v_add_f64 v[129:130], v[106:107], -v[114:115]
	v_fma_f64 v[58:59], v[58:59], s[8:9], v[133:134]
	v_fma_f64 v[56:57], v[56:57], s[2:3], v[135:136]
	v_fma_f64 v[84:85], v[84:85], 2.0, -v[137:138]
	v_fma_f64 v[133:134], v[66:67], 2.0, -v[139:140]
	;; [unrolled: 1-line block ×4, first 2 shown]
	v_fma_f64 v[162:163], v[108:109], s[20:21], v[121:122]
	v_add_f64 v[64:65], v[82:83], -v[76:77]
	v_add_f64 v[66:67], v[96:97], -v[78:79]
	v_fma_f64 v[68:69], v[68:69], 2.0, -v[74:75]
	v_fma_f64 v[70:71], v[70:71], 2.0, -v[72:73]
	;; [unrolled: 1-line block ×3, first 2 shown]
	v_fma_f64 v[76:77], v[74:75], s[8:9], v[137:138]
	v_fma_f64 v[78:79], v[72:73], s[8:9], v[80:81]
	v_fma_f64 v[123:124], v[86:87], 2.0, -v[62:63]
	v_fma_f64 v[125:126], v[92:93], 2.0, -v[60:61]
	;; [unrolled: 1-line block ×6, first 2 shown]
	v_fma_f64 v[90:91], v[98:99], s[20:21], v[139:140]
	v_fma_f64 v[154:155], v[58:59], s[16:17], v[62:63]
	;; [unrolled: 1-line block ×5, first 2 shown]
	v_fma_f64 v[82:83], v[82:83], 2.0, -v[64:65]
	v_fma_f64 v[92:93], v[96:97], 2.0, -v[66:67]
	v_fma_f64 v[112:113], v[68:69], s[2:3], v[84:85]
	v_fma_f64 v[114:115], v[70:71], s[2:3], v[131:132]
	;; [unrolled: 1-line block ×3, first 2 shown]
	v_add_f64 v[104:105], v[127:128], v[66:67]
	v_add_f64 v[106:107], v[129:130], -v[64:65]
	v_fma_f64 v[100:101], v[72:73], s[8:9], v[76:77]
	v_fma_f64 v[102:103], v[74:75], s[2:3], v[78:79]
	;; [unrolled: 1-line block ×6, first 2 shown]
	v_fma_f64 v[90:91], v[121:122], 2.0, -v[98:99]
	v_add_f64 v[76:77], v[141:142], -v[82:83]
	v_add_f64 v[78:79], v[143:144], -v[92:93]
	v_fma_f64 v[116:117], v[70:71], s[8:9], v[112:113]
	v_fma_f64 v[118:119], v[68:69], s[2:3], v[114:115]
	;; [unrolled: 1-line block ×5, first 2 shown]
	v_fma_f64 v[64:65], v[127:128], 2.0, -v[104:105]
	v_fma_f64 v[66:67], v[129:130], 2.0, -v[106:107]
	;; [unrolled: 1-line block ×4, first 2 shown]
	v_fma_f64 v[92:93], v[88:89], s[16:17], v[158:159]
	v_fma_f64 v[94:95], v[86:87], s[18:19], v[160:161]
	v_fma_f64 v[88:89], v[139:140], 2.0, -v[96:97]
	v_fma_f64 v[56:57], v[141:142], 2.0, -v[76:77]
	;; [unrolled: 1-line block ×11, first 2 shown]
	s_and_saveexec_b32 s1, vcc_lo
	s_cbranch_execz .LBB0_17
; %bb.16:
	v_mov_b32_e32 v121, 4
	v_lshlrev_b32_sdwa v121, v121, v152 dst_sel:DWORD dst_unused:UNUSED_PAD src0_sel:DWORD src1_sel:WORD_0
	ds_write_b128 v121, v[56:59]
	ds_write_b128 v121, v[60:63] offset:16
	ds_write_b128 v121, v[72:75] offset:32
	;; [unrolled: 1-line block ×15, first 2 shown]
.LBB0_17:
	s_or_b32 exec_lo, exec_lo, s1
	s_waitcnt lgkmcnt(0)
	s_barrier
	buffer_gl0_inv
	s_and_saveexec_b32 s1, s0
	s_cbranch_execz .LBB0_19
; %bb.18:
	ds_read_b128 v[56:59], v149
	ds_read_b128 v[60:63], v149 offset:1536
	ds_read_b128 v[72:75], v149 offset:3072
	;; [unrolled: 1-line block ×9, first 2 shown]
.LBB0_19:
	s_or_b32 exec_lo, exec_lo, s1
	s_waitcnt lgkmcnt(0)
	s_barrier
	buffer_gl0_inv
	s_and_saveexec_b32 s24, s0
	s_cbranch_execz .LBB0_21
; %bb.20:
	v_mul_f64 v[96:97], v[22:23], v[80:81]
	v_mul_f64 v[98:99], v[18:19], v[84:85]
	;; [unrolled: 1-line block ×18, first 2 shown]
	s_mov_b32 s2, 0x134454ff
	s_mov_b32 s3, 0xbfee6f0e
	;; [unrolled: 1-line block ×4, first 2 shown]
	v_fma_f64 v[82:83], v[20:21], v[82:83], -v[96:97]
	v_fma_f64 v[86:87], v[16:17], v[86:87], -v[98:99]
	;; [unrolled: 1-line block ×4, first 2 shown]
	v_fma_f64 v[20:21], v[20:21], v[80:81], v[22:23]
	v_fma_f64 v[16:17], v[16:17], v[84:85], v[18:19]
	s_mov_b32 s8, 0x4755a5e
	v_fma_f64 v[8:9], v[8:9], v[88:89], v[10:11]
	v_fma_f64 v[10:11], v[28:29], v[92:93], v[30:31]
	v_fma_f64 v[22:23], v[0:1], v[62:63], -v[112:113]
	v_fma_f64 v[74:75], v[32:33], v[74:75], -v[104:105]
	;; [unrolled: 1-line block ×5, first 2 shown]
	v_fma_f64 v[18:19], v[32:33], v[72:73], v[34:35]
	v_fma_f64 v[24:25], v[24:25], v[76:77], v[26:27]
	v_fma_f64 v[4:5], v[4:5], v[64:65], v[6:7]
	v_fma_f64 v[6:7], v[12:13], v[68:69], v[14:15]
	v_fma_f64 v[0:1], v[0:1], v[60:61], v[2:3]
	s_mov_b32 s9, 0xbfe2cf23
	s_mov_b32 s21, 0x3fe2cf23
	;; [unrolled: 1-line block ×4, first 2 shown]
	v_add_f64 v[84:85], v[82:83], -v[86:87]
	v_add_f64 v[28:29], v[90:91], v[86:87]
	v_add_f64 v[30:31], v[94:95], v[82:83]
	v_add_f64 v[76:77], v[82:83], -v[94:95]
	v_add_f64 v[80:81], v[86:87], -v[90:91]
	;; [unrolled: 1-line block ×3, first 2 shown]
	v_add_f64 v[14:15], v[8:9], v[16:17]
	v_add_f64 v[26:27], v[10:11], v[20:21]
	v_add_f64 v[32:33], v[20:21], -v[10:11]
	v_add_f64 v[34:35], v[16:17], -v[8:9]
	;; [unrolled: 1-line block ×3, first 2 shown]
	v_add_f64 v[98:99], v[78:79], v[74:75]
	v_add_f64 v[60:61], v[70:71], v[66:67]
	v_add_f64 v[106:107], v[90:91], -v[94:95]
	v_add_f64 v[114:115], v[24:25], v[18:19]
	v_add_f64 v[62:63], v[18:19], -v[24:25]
	v_add_f64 v[112:113], v[6:7], v[4:5]
	v_add_f64 v[108:109], v[58:59], v[74:75]
	v_add_f64 v[116:117], v[18:19], -v[4:5]
	v_add_f64 v[123:124], v[4:5], -v[18:19]
	v_add_f64 v[18:19], v[56:57], v[18:19]
	v_add_f64 v[2:3], v[74:75], -v[66:67]
	v_add_f64 v[12:13], v[78:79], -v[70:71]
	v_fma_f64 v[28:29], v[28:29], -0.5, v[22:23]
	v_fma_f64 v[30:31], v[30:31], -0.5, v[22:23]
	v_add_f64 v[22:23], v[82:83], v[22:23]
	v_add_f64 v[64:65], v[4:5], -v[6:7]
	v_add_f64 v[68:69], v[20:21], -v[16:17]
	v_fma_f64 v[14:15], v[14:15], -0.5, v[0:1]
	v_fma_f64 v[26:27], v[26:27], -0.5, v[0:1]
	v_add_f64 v[0:1], v[20:21], v[0:1]
	v_add_f64 v[72:73], v[10:11], -v[8:9]
	v_add_f64 v[92:93], v[66:67], -v[74:75]
	;; [unrolled: 1-line block ×5, first 2 shown]
	v_fma_f64 v[20:21], v[60:61], -0.5, v[58:59]
	v_fma_f64 v[58:59], v[98:99], -0.5, v[58:59]
	v_add_f64 v[60:61], v[88:89], v[84:85]
	v_add_f64 v[84:85], v[106:107], v[104:105]
	v_add_f64 v[121:122], v[66:67], -v[70:71]
	s_mov_b32 s1, 0x3fd3c6ef
	v_add_f64 v[66:67], v[66:67], v[108:109]
	v_add_f64 v[4:5], v[4:5], v[18:19]
	v_add_f64 v[96:97], v[70:71], -v[78:79]
	v_fma_f64 v[82:83], v[32:33], s[2:3], v[28:29]
	v_fma_f64 v[110:111], v[34:35], s[18:19], v[30:31]
	;; [unrolled: 1-line block ×4, first 2 shown]
	v_add_f64 v[22:23], v[86:87], v[22:23]
	v_fma_f64 v[88:89], v[76:77], s[18:19], v[14:15]
	v_fma_f64 v[98:99], v[80:81], s[2:3], v[26:27]
	;; [unrolled: 1-line block ×4, first 2 shown]
	v_add_f64 v[0:1], v[16:17], v[0:1]
	v_add_f64 v[118:119], v[24:25], -v[6:7]
	v_add_f64 v[2:3], v[12:13], v[2:3]
	v_add_f64 v[12:13], v[72:73], v[68:69]
	;; [unrolled: 1-line block ×3, first 2 shown]
	v_fma_f64 v[16:17], v[62:63], s[2:3], v[20:21]
	v_fma_f64 v[18:19], v[64:65], s[18:19], v[58:59]
	;; [unrolled: 1-line block ×4, first 2 shown]
	v_add_f64 v[125:126], v[6:7], -v[24:25]
	s_mov_b32 s10, 0x9b97f4a8
	s_mov_b32 s11, 0xbfe9e377
	;; [unrolled: 1-line block ×3, first 2 shown]
	v_fma_f64 v[82:83], v[34:35], s[8:9], v[82:83]
	v_fma_f64 v[104:105], v[32:33], s[8:9], v[110:111]
	;; [unrolled: 1-line block ×4, first 2 shown]
	v_fma_f64 v[32:33], v[112:113], -0.5, v[56:57]
	v_fma_f64 v[34:35], v[114:115], -0.5, v[56:57]
	v_fma_f64 v[72:73], v[80:81], s[20:21], v[88:89]
	v_fma_f64 v[86:87], v[76:77], s[20:21], v[98:99]
	;; [unrolled: 1-line block ×4, first 2 shown]
	s_mov_b32 s22, s10
	v_add_f64 v[66:67], v[70:71], v[66:67]
	v_add_f64 v[22:23], v[90:91], v[22:23]
	;; [unrolled: 1-line block ×4, first 2 shown]
	s_mov_b32 s17, 0xbfd3c6ef
	s_mov_b32 s16, s0
	v_add_f64 v[56:57], v[96:97], v[92:93]
	v_fma_f64 v[6:7], v[64:65], s[8:9], v[16:17]
	v_fma_f64 v[8:9], v[62:63], s[8:9], v[18:19]
	;; [unrolled: 1-line block ×12, first 2 shown]
	v_add_f64 v[84:85], v[118:119], v[116:117]
	v_fma_f64 v[20:21], v[12:13], s[0:1], v[72:73]
	v_fma_f64 v[58:59], v[68:69], s[0:1], v[86:87]
	;; [unrolled: 1-line block ×4, first 2 shown]
	v_add_f64 v[88:89], v[125:126], v[123:124]
	v_add_f64 v[66:67], v[78:79], v[66:67]
	;; [unrolled: 1-line block ×5, first 2 shown]
	v_fma_f64 v[24:25], v[2:3], s[0:1], v[6:7]
	v_fma_f64 v[8:9], v[56:57], s[0:1], v[8:9]
	;; [unrolled: 1-line block ×4, first 2 shown]
	v_mul_f64 v[14:15], v[76:77], s[10:11]
	v_mul_f64 v[62:63], v[80:81], s[16:17]
	;; [unrolled: 1-line block ×5, first 2 shown]
	v_fma_f64 v[32:33], v[121:122], s[8:9], v[32:33]
	v_mul_f64 v[30:31], v[30:31], s[2:3]
	v_fma_f64 v[34:35], v[74:75], s[8:9], v[34:35]
	v_fma_f64 v[70:71], v[74:75], s[20:21], v[82:83]
	v_mul_f64 v[72:73], v[80:81], s[2:3]
	v_fma_f64 v[60:61], v[121:122], s[20:21], v[60:61]
	v_mul_f64 v[74:75], v[76:77], s[8:9]
	v_add_f64 v[6:7], v[66:67], v[22:23]
	v_add_f64 v[2:3], v[66:67], -v[22:23]
	v_add_f64 v[0:1], v[4:5], -v[10:11]
	v_add_f64 v[4:5], v[4:5], v[10:11]
	v_fma_f64 v[76:77], v[20:21], s[20:21], v[14:15]
	v_fma_f64 v[62:63], v[58:59], s[18:19], v[62:63]
	;; [unrolled: 1-line block ×12, first 2 shown]
	v_mul_u32_u24_e32 v84, 0xa0, v153
	v_add_f64 v[10:11], v[24:25], -v[76:77]
	v_add_f64 v[30:31], v[8:9], v[62:63]
	v_add_f64 v[34:35], v[16:17], v[64:65]
	v_add_f64 v[22:23], v[56:57], -v[68:69]
	v_add_f64 v[58:59], v[56:57], v[68:69]
	v_add_f64 v[56:57], v[80:81], v[12:13]
	;; [unrolled: 1-line block ×4, first 2 shown]
	v_add_f64 v[20:21], v[80:81], -v[12:13]
	v_add_f64 v[28:29], v[70:71], v[72:73]
	v_add_f64 v[18:19], v[16:17], -v[64:65]
	v_add_f64 v[24:25], v[60:61], v[74:75]
	v_add_f64 v[16:17], v[78:79], -v[82:83]
	v_add_f64 v[14:15], v[8:9], -v[62:63]
	;; [unrolled: 1-line block ×4, first 2 shown]
	v_or_b32_e32 v60, v84, v151
	v_lshlrev_b32_e32 v60, 4, v60
	ds_write_b128 v60, v[4:7]
	ds_write_b128 v60, v[0:3] offset:1280
	ds_write_b128 v60, v[56:59] offset:256
	;; [unrolled: 1-line block ×9, first 2 shown]
.LBB0_21:
	s_or_b32 exec_lo, exec_lo, s24
	s_waitcnt lgkmcnt(0)
	s_barrier
	buffer_gl0_inv
	ds_read_b128 v[0:3], v149 offset:7680
	ds_read_b128 v[4:7], v149 offset:12800
	;; [unrolled: 1-line block ×5, first 2 shown]
	s_mov_b32 s0, 0xe8584caa
	s_mov_b32 s1, 0xbfebb67a
	s_mov_b32 s3, 0x3febb67a
	s_mov_b32 s2, s0
	s_waitcnt lgkmcnt(4)
	v_mul_f64 v[20:21], v[38:39], v[0:1]
	s_waitcnt lgkmcnt(3)
	v_mul_f64 v[22:23], v[54:55], v[4:5]
	s_waitcnt lgkmcnt(2)
	v_mul_f64 v[24:25], v[42:43], v[8:9]
	v_mul_f64 v[26:27], v[38:39], v[2:3]
	v_mul_f64 v[28:29], v[54:55], v[6:7]
	s_waitcnt lgkmcnt(1)
	v_mul_f64 v[30:31], v[50:51], v[12:13]
	s_waitcnt lgkmcnt(0)
	v_mul_f64 v[32:33], v[46:47], v[18:19]
	v_mul_f64 v[34:35], v[46:47], v[16:17]
	v_fma_f64 v[20:21], v[36:37], v[2:3], -v[20:21]
	v_fma_f64 v[6:7], v[52:53], v[6:7], -v[22:23]
	v_mul_f64 v[2:3], v[42:43], v[10:11]
	v_mul_f64 v[22:23], v[50:51], v[14:15]
	v_fma_f64 v[26:27], v[36:37], v[0:1], v[26:27]
	v_fma_f64 v[4:5], v[52:53], v[4:5], v[28:29]
	v_fma_f64 v[10:11], v[40:41], v[10:11], -v[24:25]
	v_fma_f64 v[14:15], v[48:49], v[14:15], -v[30:31]
	v_fma_f64 v[16:17], v[44:45], v[16:17], v[32:33]
	v_fma_f64 v[18:19], v[44:45], v[18:19], -v[34:35]
	v_add_f64 v[0:1], v[20:21], v[6:7]
	v_fma_f64 v[8:9], v[40:41], v[8:9], v[2:3]
	v_fma_f64 v[12:13], v[48:49], v[12:13], v[22:23]
	v_add_f64 v[34:35], v[20:21], -v[6:7]
	v_add_f64 v[22:23], v[26:27], v[4:5]
	v_add_f64 v[24:25], v[26:27], -v[4:5]
	v_add_f64 v[32:33], v[14:15], v[18:19]
	v_add_f64 v[38:39], v[14:15], -v[18:19]
	v_fma_f64 v[28:29], v[0:1], -0.5, v[10:11]
	ds_read_b128 v[0:3], v149
	v_add_f64 v[30:31], v[12:13], v[16:17]
	v_add_f64 v[10:11], v[10:11], v[20:21]
	v_fma_f64 v[22:23], v[22:23], -0.5, v[8:9]
	v_add_f64 v[8:9], v[8:9], v[26:27]
	s_waitcnt lgkmcnt(0)
	v_add_f64 v[14:15], v[2:3], v[14:15]
	v_fma_f64 v[36:37], v[24:25], s[2:3], v[28:29]
	v_fma_f64 v[24:25], v[24:25], s[0:1], v[28:29]
	v_add_f64 v[28:29], v[0:1], v[12:13]
	v_add_f64 v[12:13], v[12:13], -v[16:17]
	v_fma_f64 v[0:1], v[30:31], -0.5, v[0:1]
	v_fma_f64 v[2:3], v[32:33], -0.5, v[2:3]
	v_fma_f64 v[20:21], v[34:35], s[0:1], v[22:23]
	v_fma_f64 v[22:23], v[34:35], s[2:3], v[22:23]
	v_add_f64 v[4:5], v[8:9], v[4:5]
	v_add_f64 v[6:7], v[10:11], v[6:7]
	;; [unrolled: 1-line block ×3, first 2 shown]
	v_mul_f64 v[26:27], v[36:37], s[0:1]
	v_mul_f64 v[32:33], v[36:37], 0.5
	v_mul_f64 v[30:31], v[24:25], s[0:1]
	v_mul_f64 v[24:25], v[24:25], -0.5
	v_add_f64 v[16:17], v[28:29], v[16:17]
	v_fma_f64 v[18:19], v[38:39], s[0:1], v[0:1]
	v_fma_f64 v[34:35], v[12:13], s[2:3], v[2:3]
	;; [unrolled: 1-line block ×4, first 2 shown]
	v_add_f64 v[2:3], v[14:15], v[6:7]
	v_fma_f64 v[26:27], v[20:21], 0.5, v[26:27]
	v_fma_f64 v[32:33], v[20:21], s[2:3], v[32:33]
	v_fma_f64 v[30:31], v[22:23], -0.5, v[30:31]
	v_fma_f64 v[22:23], v[22:23], s[2:3], v[24:25]
	v_add_f64 v[0:1], v[16:17], v[4:5]
	v_add_f64 v[4:5], v[16:17], -v[4:5]
	v_add_f64 v[6:7], v[14:15], -v[6:7]
	v_add_f64 v[8:9], v[18:19], v[26:27]
	v_add_f64 v[10:11], v[34:35], v[32:33]
	;; [unrolled: 1-line block ×4, first 2 shown]
	v_add_f64 v[16:17], v[18:19], -v[26:27]
	v_add_f64 v[18:19], v[34:35], -v[32:33]
	;; [unrolled: 1-line block ×4, first 2 shown]
	ds_write_b128 v149, v[0:3]
	ds_write_b128 v149, v[4:7] offset:7680
	ds_write_b128 v149, v[8:11] offset:2560
	ds_write_b128 v149, v[12:15] offset:5120
	ds_write_b128 v149, v[16:19] offset:10240
	ds_write_b128 v149, v[20:23] offset:12800
	s_waitcnt lgkmcnt(0)
	s_barrier
	buffer_gl0_inv
	s_and_b32 exec_lo, exec_lo, vcc_lo
	s_cbranch_execz .LBB0_23
; %bb.22:
	v_add_co_u32 v0, s0, s14, v149
	v_add_co_ci_u32_e64 v1, null, s15, 0, s0
	v_mad_u64_u32 v[50:51], null, s6, v120, 0
	v_add_co_u32 v18, vcc_lo, 0x800, v0
	v_add_co_ci_u32_e32 v19, vcc_lo, 0, v1, vcc_lo
	v_add_co_u32 v26, vcc_lo, 0x1000, v0
	v_add_co_ci_u32_e32 v27, vcc_lo, 0, v1, vcc_lo
	;; [unrolled: 2-line block ×4, first 2 shown]
	s_clause 0x6
	global_load_dwordx4 v[2:5], v149, s[14:15]
	global_load_dwordx4 v[6:9], v149, s[14:15] offset:960
	global_load_dwordx4 v[10:13], v149, s[14:15] offset:1920
	global_load_dwordx4 v[14:17], v[18:19], off offset:832
	global_load_dwordx4 v[18:21], v[18:19], off offset:1792
	;; [unrolled: 1-line block ×4, first 2 shown]
	v_add_co_u32 v98, vcc_lo, 0x2800, v0
	s_clause 0x1
	global_load_dwordx4 v[30:33], v[34:35], off offset:576
	global_load_dwordx4 v[34:37], v[34:35], off offset:1536
	v_add_co_ci_u32_e32 v99, vcc_lo, 0, v1, vcc_lo
	s_clause 0x2
	global_load_dwordx4 v[38:41], v[42:43], off offset:448
	global_load_dwordx4 v[42:45], v[42:43], off offset:1408
	;; [unrolled: 1-line block ×3, first 2 shown]
	v_mad_u64_u32 v[52:53], null, s4, v150, 0
	s_mul_i32 s0, s5, 0x3c0
	s_mul_hi_u32 s3, s4, 0x3c0
	s_mul_i32 s2, s4, 0x3c0
	s_add_i32 s3, s3, s0
	s_mov_b32 s0, 0x11111111
	s_mov_b32 s1, 0x3f511111
	v_mad_u64_u32 v[54:55], null, s7, v120, v[51:52]
	v_mad_u64_u32 v[55:56], null, s5, v150, v[53:54]
	v_mov_b32_e32 v51, v54
	v_lshlrev_b64 v[50:51], 4, v[50:51]
	v_mov_b32_e32 v53, v55
	v_lshlrev_b64 v[52:53], 4, v[52:53]
	v_add_co_u32 v50, vcc_lo, s12, v50
	v_add_co_ci_u32_e32 v51, vcc_lo, s13, v51, vcc_lo
	v_add_co_u32 v100, vcc_lo, v50, v52
	v_add_co_ci_u32_e32 v101, vcc_lo, v51, v53, vcc_lo
	ds_read_b128 v[50:53], v149
	ds_read_b128 v[54:57], v149 offset:960
	ds_read_b128 v[58:61], v149 offset:1920
	;; [unrolled: 1-line block ×11, first 2 shown]
	v_add_co_u32 v102, vcc_lo, v100, s2
	v_add_co_ci_u32_e32 v103, vcc_lo, s3, v101, vcc_lo
	v_add_co_u32 v104, vcc_lo, v102, s2
	v_add_co_ci_u32_e32 v105, vcc_lo, s3, v103, vcc_lo
	;; [unrolled: 2-line block ×9, first 2 shown]
	s_waitcnt vmcnt(11) lgkmcnt(11)
	v_mul_f64 v[120:121], v[52:53], v[4:5]
	v_mul_f64 v[4:5], v[50:51], v[4:5]
	s_waitcnt vmcnt(10) lgkmcnt(10)
	v_mul_f64 v[122:123], v[56:57], v[8:9]
	v_mul_f64 v[8:9], v[54:55], v[8:9]
	;; [unrolled: 3-line block ×12, first 2 shown]
	v_fma_f64 v[50:51], v[50:51], v[2:3], v[120:121]
	v_fma_f64 v[4:5], v[2:3], v[52:53], -v[4:5]
	v_fma_f64 v[52:53], v[54:55], v[6:7], v[122:123]
	v_fma_f64 v[8:9], v[6:7], v[56:57], -v[8:9]
	;; [unrolled: 2-line block ×12, first 2 shown]
	v_mul_f64 v[2:3], v[50:51], s[0:1]
	v_mul_f64 v[4:5], v[4:5], s[0:1]
	v_mul_f64 v[6:7], v[52:53], s[0:1]
	v_mul_f64 v[8:9], v[8:9], s[0:1]
	v_mul_f64 v[10:11], v[54:55], s[0:1]
	v_mul_f64 v[12:13], v[12:13], s[0:1]
	v_mul_f64 v[14:15], v[56:57], s[0:1]
	v_mul_f64 v[16:17], v[16:17], s[0:1]
	v_mul_f64 v[18:19], v[58:59], s[0:1]
	v_mul_f64 v[20:21], v[20:21], s[0:1]
	v_mul_f64 v[22:23], v[60:61], s[0:1]
	v_mul_f64 v[24:25], v[24:25], s[0:1]
	v_mul_f64 v[26:27], v[62:63], s[0:1]
	v_mul_f64 v[28:29], v[28:29], s[0:1]
	v_mul_f64 v[30:31], v[64:65], s[0:1]
	v_mul_f64 v[32:33], v[32:33], s[0:1]
	v_mul_f64 v[34:35], v[66:67], s[0:1]
	v_mul_f64 v[36:37], v[36:37], s[0:1]
	v_mul_f64 v[38:39], v[68:69], s[0:1]
	v_mul_f64 v[40:41], v[40:41], s[0:1]
	v_mul_f64 v[42:43], v[70:71], s[0:1]
	v_mul_f64 v[44:45], v[44:45], s[0:1]
	v_mul_f64 v[46:47], v[72:73], s[0:1]
	v_mul_f64 v[48:49], v[48:49], s[0:1]
	v_add_co_u32 v50, vcc_lo, v118, s2
	v_add_co_ci_u32_e32 v51, vcc_lo, s3, v119, vcc_lo
	v_add_co_u32 v52, vcc_lo, v50, s2
	v_add_co_ci_u32_e32 v53, vcc_lo, s3, v51, vcc_lo
	global_store_dwordx4 v[100:101], v[2:5], off
	global_store_dwordx4 v[102:103], v[6:9], off
	;; [unrolled: 1-line block ×12, first 2 shown]
	global_load_dwordx4 v[2:5], v[98:99], off offset:1280
	ds_read_b128 v[6:9], v149 offset:11520
	ds_read_b128 v[10:13], v149 offset:12480
	s_waitcnt vmcnt(0) lgkmcnt(1)
	v_mul_f64 v[14:15], v[8:9], v[4:5]
	v_mul_f64 v[4:5], v[6:7], v[4:5]
	v_fma_f64 v[6:7], v[6:7], v[2:3], v[14:15]
	v_fma_f64 v[4:5], v[2:3], v[8:9], -v[4:5]
	v_mul_f64 v[2:3], v[6:7], s[0:1]
	v_mul_f64 v[4:5], v[4:5], s[0:1]
	v_add_co_u32 v6, vcc_lo, v52, s2
	v_add_co_ci_u32_e32 v7, vcc_lo, s3, v53, vcc_lo
	v_add_co_u32 v8, vcc_lo, 0x3000, v0
	v_add_co_ci_u32_e32 v9, vcc_lo, 0, v1, vcc_lo
	global_store_dwordx4 v[6:7], v[2:5], off
	global_load_dwordx4 v[2:5], v[8:9], off offset:192
	s_waitcnt vmcnt(0) lgkmcnt(0)
	v_mul_f64 v[14:15], v[12:13], v[4:5]
	v_mul_f64 v[4:5], v[10:11], v[4:5]
	v_fma_f64 v[10:11], v[10:11], v[2:3], v[14:15]
	v_fma_f64 v[4:5], v[2:3], v[12:13], -v[4:5]
	v_add_co_u32 v14, vcc_lo, v6, s2
	v_add_co_ci_u32_e32 v15, vcc_lo, s3, v7, vcc_lo
	v_mul_f64 v[2:3], v[10:11], s[0:1]
	v_mul_f64 v[4:5], v[4:5], s[0:1]
	global_store_dwordx4 v[14:15], v[2:5], off
	global_load_dwordx4 v[2:5], v[8:9], off offset:1152
	ds_read_b128 v[6:9], v149 offset:13440
	ds_read_b128 v[10:13], v149 offset:14400
	s_waitcnt vmcnt(0) lgkmcnt(1)
	v_mul_f64 v[16:17], v[8:9], v[4:5]
	v_mul_f64 v[4:5], v[6:7], v[4:5]
	v_fma_f64 v[6:7], v[6:7], v[2:3], v[16:17]
	v_fma_f64 v[4:5], v[2:3], v[8:9], -v[4:5]
	v_mul_f64 v[2:3], v[6:7], s[0:1]
	v_mul_f64 v[4:5], v[4:5], s[0:1]
	v_add_co_u32 v6, vcc_lo, v14, s2
	v_add_co_ci_u32_e32 v7, vcc_lo, s3, v15, vcc_lo
	v_add_co_u32 v0, vcc_lo, 0x3800, v0
	v_add_co_ci_u32_e32 v1, vcc_lo, 0, v1, vcc_lo
	global_store_dwordx4 v[6:7], v[2:5], off
	global_load_dwordx4 v[0:3], v[0:1], off offset:64
	s_waitcnt vmcnt(0) lgkmcnt(0)
	v_mul_f64 v[4:5], v[12:13], v[2:3]
	v_mul_f64 v[2:3], v[10:11], v[2:3]
	v_fma_f64 v[4:5], v[10:11], v[0:1], v[4:5]
	v_fma_f64 v[2:3], v[0:1], v[12:13], -v[2:3]
	v_mul_f64 v[0:1], v[4:5], s[0:1]
	v_mul_f64 v[2:3], v[2:3], s[0:1]
	v_add_co_u32 v4, vcc_lo, v6, s2
	v_add_co_ci_u32_e32 v5, vcc_lo, s3, v7, vcc_lo
	global_store_dwordx4 v[4:5], v[0:3], off
.LBB0_23:
	s_endpgm
	.section	.rodata,"a",@progbits
	.p2align	6, 0x0
	.amdhsa_kernel bluestein_single_fwd_len960_dim1_dp_op_CI_CI
		.amdhsa_group_segment_fixed_size 15360
		.amdhsa_private_segment_fixed_size 0
		.amdhsa_kernarg_size 104
		.amdhsa_user_sgpr_count 6
		.amdhsa_user_sgpr_private_segment_buffer 1
		.amdhsa_user_sgpr_dispatch_ptr 0
		.amdhsa_user_sgpr_queue_ptr 0
		.amdhsa_user_sgpr_kernarg_segment_ptr 1
		.amdhsa_user_sgpr_dispatch_id 0
		.amdhsa_user_sgpr_flat_scratch_init 0
		.amdhsa_user_sgpr_private_segment_size 0
		.amdhsa_wavefront_size32 1
		.amdhsa_uses_dynamic_stack 0
		.amdhsa_system_sgpr_private_segment_wavefront_offset 0
		.amdhsa_system_sgpr_workgroup_id_x 1
		.amdhsa_system_sgpr_workgroup_id_y 0
		.amdhsa_system_sgpr_workgroup_id_z 0
		.amdhsa_system_sgpr_workgroup_info 0
		.amdhsa_system_vgpr_workitem_id 0
		.amdhsa_next_free_vgpr 202
		.amdhsa_next_free_sgpr 25
		.amdhsa_reserve_vcc 1
		.amdhsa_reserve_flat_scratch 0
		.amdhsa_float_round_mode_32 0
		.amdhsa_float_round_mode_16_64 0
		.amdhsa_float_denorm_mode_32 3
		.amdhsa_float_denorm_mode_16_64 3
		.amdhsa_dx10_clamp 1
		.amdhsa_ieee_mode 1
		.amdhsa_fp16_overflow 0
		.amdhsa_workgroup_processor_mode 1
		.amdhsa_memory_ordered 1
		.amdhsa_forward_progress 0
		.amdhsa_shared_vgpr_count 0
		.amdhsa_exception_fp_ieee_invalid_op 0
		.amdhsa_exception_fp_denorm_src 0
		.amdhsa_exception_fp_ieee_div_zero 0
		.amdhsa_exception_fp_ieee_overflow 0
		.amdhsa_exception_fp_ieee_underflow 0
		.amdhsa_exception_fp_ieee_inexact 0
		.amdhsa_exception_int_div_zero 0
	.end_amdhsa_kernel
	.text
.Lfunc_end0:
	.size	bluestein_single_fwd_len960_dim1_dp_op_CI_CI, .Lfunc_end0-bluestein_single_fwd_len960_dim1_dp_op_CI_CI
                                        ; -- End function
	.section	.AMDGPU.csdata,"",@progbits
; Kernel info:
; codeLenInByte = 13016
; NumSgprs: 27
; NumVgprs: 202
; ScratchSize: 0
; MemoryBound: 0
; FloatMode: 240
; IeeeMode: 1
; LDSByteSize: 15360 bytes/workgroup (compile time only)
; SGPRBlocks: 3
; VGPRBlocks: 25
; NumSGPRsForWavesPerEU: 27
; NumVGPRsForWavesPerEU: 202
; Occupancy: 4
; WaveLimiterHint : 1
; COMPUTE_PGM_RSRC2:SCRATCH_EN: 0
; COMPUTE_PGM_RSRC2:USER_SGPR: 6
; COMPUTE_PGM_RSRC2:TRAP_HANDLER: 0
; COMPUTE_PGM_RSRC2:TGID_X_EN: 1
; COMPUTE_PGM_RSRC2:TGID_Y_EN: 0
; COMPUTE_PGM_RSRC2:TGID_Z_EN: 0
; COMPUTE_PGM_RSRC2:TIDIG_COMP_CNT: 0
	.text
	.p2alignl 6, 3214868480
	.fill 48, 4, 3214868480
	.type	__hip_cuid_5515b53b044f1c73,@object ; @__hip_cuid_5515b53b044f1c73
	.section	.bss,"aw",@nobits
	.globl	__hip_cuid_5515b53b044f1c73
__hip_cuid_5515b53b044f1c73:
	.byte	0                               ; 0x0
	.size	__hip_cuid_5515b53b044f1c73, 1

	.ident	"AMD clang version 19.0.0git (https://github.com/RadeonOpenCompute/llvm-project roc-6.4.0 25133 c7fe45cf4b819c5991fe208aaa96edf142730f1d)"
	.section	".note.GNU-stack","",@progbits
	.addrsig
	.addrsig_sym __hip_cuid_5515b53b044f1c73
	.amdgpu_metadata
---
amdhsa.kernels:
  - .args:
      - .actual_access:  read_only
        .address_space:  global
        .offset:         0
        .size:           8
        .value_kind:     global_buffer
      - .actual_access:  read_only
        .address_space:  global
        .offset:         8
        .size:           8
        .value_kind:     global_buffer
      - .actual_access:  read_only
        .address_space:  global
        .offset:         16
        .size:           8
        .value_kind:     global_buffer
      - .actual_access:  read_only
        .address_space:  global
        .offset:         24
        .size:           8
        .value_kind:     global_buffer
      - .actual_access:  read_only
        .address_space:  global
        .offset:         32
        .size:           8
        .value_kind:     global_buffer
      - .offset:         40
        .size:           8
        .value_kind:     by_value
      - .address_space:  global
        .offset:         48
        .size:           8
        .value_kind:     global_buffer
      - .address_space:  global
        .offset:         56
        .size:           8
        .value_kind:     global_buffer
      - .address_space:  global
        .offset:         64
        .size:           8
        .value_kind:     global_buffer
      - .address_space:  global
        .offset:         72
        .size:           8
        .value_kind:     global_buffer
      - .offset:         80
        .size:           4
        .value_kind:     by_value
      - .address_space:  global
        .offset:         88
        .size:           8
        .value_kind:     global_buffer
      - .address_space:  global
        .offset:         96
        .size:           8
        .value_kind:     global_buffer
    .group_segment_fixed_size: 15360
    .kernarg_segment_align: 8
    .kernarg_segment_size: 104
    .language:       OpenCL C
    .language_version:
      - 2
      - 0
    .max_flat_workgroup_size: 160
    .name:           bluestein_single_fwd_len960_dim1_dp_op_CI_CI
    .private_segment_fixed_size: 0
    .sgpr_count:     27
    .sgpr_spill_count: 0
    .symbol:         bluestein_single_fwd_len960_dim1_dp_op_CI_CI.kd
    .uniform_work_group_size: 1
    .uses_dynamic_stack: false
    .vgpr_count:     202
    .vgpr_spill_count: 0
    .wavefront_size: 32
    .workgroup_processor_mode: 1
amdhsa.target:   amdgcn-amd-amdhsa--gfx1030
amdhsa.version:
  - 1
  - 2
...

	.end_amdgpu_metadata
